;; amdgpu-corpus repo=ROCm/rocFFT kind=compiled arch=gfx1201 opt=O3
	.text
	.amdgcn_target "amdgcn-amd-amdhsa--gfx1201"
	.amdhsa_code_object_version 6
	.protected	fft_rtc_fwd_len1750_factors_2_5_5_7_5_wgs_175_tpt_175_halfLds_sp_op_CI_CI_unitstride_sbrr_dirReg ; -- Begin function fft_rtc_fwd_len1750_factors_2_5_5_7_5_wgs_175_tpt_175_halfLds_sp_op_CI_CI_unitstride_sbrr_dirReg
	.globl	fft_rtc_fwd_len1750_factors_2_5_5_7_5_wgs_175_tpt_175_halfLds_sp_op_CI_CI_unitstride_sbrr_dirReg
	.p2align	8
	.type	fft_rtc_fwd_len1750_factors_2_5_5_7_5_wgs_175_tpt_175_halfLds_sp_op_CI_CI_unitstride_sbrr_dirReg,@function
fft_rtc_fwd_len1750_factors_2_5_5_7_5_wgs_175_tpt_175_halfLds_sp_op_CI_CI_unitstride_sbrr_dirReg: ; @fft_rtc_fwd_len1750_factors_2_5_5_7_5_wgs_175_tpt_175_halfLds_sp_op_CI_CI_unitstride_sbrr_dirReg
; %bb.0:
	s_clause 0x2
	s_load_b128 s[8:11], s[0:1], 0x0
	s_load_b128 s[4:7], s[0:1], 0x58
	;; [unrolled: 1-line block ×3, first 2 shown]
	v_mul_u32_u24_e32 v1, 0x177, v0
	v_mov_b32_e32 v7, 0
	v_mov_b32_e32 v5, 0
	;; [unrolled: 1-line block ×3, first 2 shown]
	s_delay_alu instid0(VALU_DEP_4) | instskip(NEXT) | instid1(VALU_DEP_1)
	v_lshrrev_b32_e32 v1, 16, v1
	v_dual_mov_b32 v10, v7 :: v_dual_add_nc_u32 v9, ttmp9, v1
	s_wait_kmcnt 0x0
	v_cmp_lt_u64_e64 s2, s[10:11], 2
	s_delay_alu instid0(VALU_DEP_1)
	s_and_b32 vcc_lo, exec_lo, s2
	s_cbranch_vccnz .LBB0_8
; %bb.1:
	s_load_b64 s[2:3], s[0:1], 0x10
	v_mov_b32_e32 v5, 0
	v_mov_b32_e32 v6, 0
	s_delay_alu instid0(VALU_DEP_2)
	v_mov_b32_e32 v1, v5
	s_add_nc_u64 s[16:17], s[14:15], 8
	s_add_nc_u64 s[18:19], s[12:13], 8
	s_mov_b64 s[20:21], 1
	v_mov_b32_e32 v2, v6
	s_wait_kmcnt 0x0
	s_add_nc_u64 s[22:23], s[2:3], 8
	s_mov_b32 s3, 0
.LBB0_2:                                ; =>This Inner Loop Header: Depth=1
	s_load_b64 s[24:25], s[22:23], 0x0
                                        ; implicit-def: $vgpr3_vgpr4
	s_mov_b32 s2, exec_lo
	s_wait_kmcnt 0x0
	v_or_b32_e32 v8, s25, v10
	s_delay_alu instid0(VALU_DEP_1)
	v_cmpx_ne_u64_e32 0, v[7:8]
	s_wait_alu 0xfffe
	s_xor_b32 s26, exec_lo, s2
	s_cbranch_execz .LBB0_4
; %bb.3:                                ;   in Loop: Header=BB0_2 Depth=1
	s_cvt_f32_u32 s2, s24
	s_cvt_f32_u32 s27, s25
	s_sub_nc_u64 s[30:31], 0, s[24:25]
	s_wait_alu 0xfffe
	s_delay_alu instid0(SALU_CYCLE_1) | instskip(SKIP_1) | instid1(SALU_CYCLE_2)
	s_fmamk_f32 s2, s27, 0x4f800000, s2
	s_wait_alu 0xfffe
	v_s_rcp_f32 s2, s2
	s_delay_alu instid0(TRANS32_DEP_1) | instskip(SKIP_1) | instid1(SALU_CYCLE_2)
	s_mul_f32 s2, s2, 0x5f7ffffc
	s_wait_alu 0xfffe
	s_mul_f32 s27, s2, 0x2f800000
	s_wait_alu 0xfffe
	s_delay_alu instid0(SALU_CYCLE_2) | instskip(SKIP_1) | instid1(SALU_CYCLE_2)
	s_trunc_f32 s27, s27
	s_wait_alu 0xfffe
	s_fmamk_f32 s2, s27, 0xcf800000, s2
	s_cvt_u32_f32 s29, s27
	s_wait_alu 0xfffe
	s_delay_alu instid0(SALU_CYCLE_1) | instskip(SKIP_1) | instid1(SALU_CYCLE_2)
	s_cvt_u32_f32 s28, s2
	s_wait_alu 0xfffe
	s_mul_u64 s[34:35], s[30:31], s[28:29]
	s_wait_alu 0xfffe
	s_mul_hi_u32 s37, s28, s35
	s_mul_i32 s36, s28, s35
	s_mul_hi_u32 s2, s28, s34
	s_mul_i32 s33, s29, s34
	s_wait_alu 0xfffe
	s_add_nc_u64 s[36:37], s[2:3], s[36:37]
	s_mul_hi_u32 s27, s29, s34
	s_mul_hi_u32 s38, s29, s35
	s_add_co_u32 s2, s36, s33
	s_wait_alu 0xfffe
	s_add_co_ci_u32 s2, s37, s27
	s_mul_i32 s34, s29, s35
	s_add_co_ci_u32 s35, s38, 0
	s_wait_alu 0xfffe
	s_add_nc_u64 s[34:35], s[2:3], s[34:35]
	s_wait_alu 0xfffe
	v_add_co_u32 v3, s2, s28, s34
	s_delay_alu instid0(VALU_DEP_1) | instskip(SKIP_1) | instid1(VALU_DEP_1)
	s_cmp_lg_u32 s2, 0
	s_add_co_ci_u32 s29, s29, s35
	v_readfirstlane_b32 s28, v3
	s_wait_alu 0xfffe
	s_delay_alu instid0(VALU_DEP_1)
	s_mul_u64 s[30:31], s[30:31], s[28:29]
	s_wait_alu 0xfffe
	s_mul_hi_u32 s35, s28, s31
	s_mul_i32 s34, s28, s31
	s_mul_hi_u32 s2, s28, s30
	s_mul_i32 s33, s29, s30
	s_wait_alu 0xfffe
	s_add_nc_u64 s[34:35], s[2:3], s[34:35]
	s_mul_hi_u32 s27, s29, s30
	s_mul_hi_u32 s28, s29, s31
	s_wait_alu 0xfffe
	s_add_co_u32 s2, s34, s33
	s_add_co_ci_u32 s2, s35, s27
	s_mul_i32 s30, s29, s31
	s_add_co_ci_u32 s31, s28, 0
	s_wait_alu 0xfffe
	s_add_nc_u64 s[30:31], s[2:3], s[30:31]
	s_wait_alu 0xfffe
	v_add_co_u32 v8, s2, v3, s30
	s_delay_alu instid0(VALU_DEP_1) | instskip(SKIP_1) | instid1(VALU_DEP_1)
	s_cmp_lg_u32 s2, 0
	s_add_co_ci_u32 s2, s29, s31
	v_mul_hi_u32 v15, v9, v8
	s_wait_alu 0xfffe
	v_mad_co_u64_u32 v[3:4], null, v9, s2, 0
	v_mad_co_u64_u32 v[11:12], null, v10, v8, 0
	;; [unrolled: 1-line block ×3, first 2 shown]
	s_delay_alu instid0(VALU_DEP_3) | instskip(SKIP_1) | instid1(VALU_DEP_4)
	v_add_co_u32 v3, vcc_lo, v15, v3
	s_wait_alu 0xfffd
	v_add_co_ci_u32_e32 v4, vcc_lo, 0, v4, vcc_lo
	s_delay_alu instid0(VALU_DEP_2) | instskip(SKIP_1) | instid1(VALU_DEP_2)
	v_add_co_u32 v3, vcc_lo, v3, v11
	s_wait_alu 0xfffd
	v_add_co_ci_u32_e32 v3, vcc_lo, v4, v12, vcc_lo
	s_wait_alu 0xfffd
	v_add_co_ci_u32_e32 v4, vcc_lo, 0, v14, vcc_lo
	s_delay_alu instid0(VALU_DEP_2) | instskip(SKIP_1) | instid1(VALU_DEP_2)
	v_add_co_u32 v8, vcc_lo, v3, v13
	s_wait_alu 0xfffd
	v_add_co_ci_u32_e32 v11, vcc_lo, 0, v4, vcc_lo
	s_delay_alu instid0(VALU_DEP_2) | instskip(SKIP_1) | instid1(VALU_DEP_3)
	v_mul_lo_u32 v12, s25, v8
	v_mad_co_u64_u32 v[3:4], null, s24, v8, 0
	v_mul_lo_u32 v13, s24, v11
	s_delay_alu instid0(VALU_DEP_2) | instskip(NEXT) | instid1(VALU_DEP_2)
	v_sub_co_u32 v3, vcc_lo, v9, v3
	v_add3_u32 v4, v4, v13, v12
	s_delay_alu instid0(VALU_DEP_1) | instskip(SKIP_1) | instid1(VALU_DEP_1)
	v_sub_nc_u32_e32 v12, v10, v4
	s_wait_alu 0xfffd
	v_subrev_co_ci_u32_e64 v12, s2, s25, v12, vcc_lo
	v_add_co_u32 v13, s2, v8, 2
	s_wait_alu 0xf1ff
	v_add_co_ci_u32_e64 v14, s2, 0, v11, s2
	v_sub_co_u32 v15, s2, v3, s24
	v_sub_co_ci_u32_e32 v4, vcc_lo, v10, v4, vcc_lo
	s_wait_alu 0xf1ff
	v_subrev_co_ci_u32_e64 v12, s2, 0, v12, s2
	s_delay_alu instid0(VALU_DEP_3) | instskip(NEXT) | instid1(VALU_DEP_3)
	v_cmp_le_u32_e32 vcc_lo, s24, v15
	v_cmp_eq_u32_e64 s2, s25, v4
	s_wait_alu 0xfffd
	v_cndmask_b32_e64 v15, 0, -1, vcc_lo
	v_cmp_le_u32_e32 vcc_lo, s25, v12
	s_wait_alu 0xfffd
	v_cndmask_b32_e64 v16, 0, -1, vcc_lo
	v_cmp_le_u32_e32 vcc_lo, s24, v3
	;; [unrolled: 3-line block ×3, first 2 shown]
	s_wait_alu 0xfffd
	v_cndmask_b32_e64 v17, 0, -1, vcc_lo
	v_cmp_eq_u32_e32 vcc_lo, s25, v12
	s_wait_alu 0xf1ff
	s_delay_alu instid0(VALU_DEP_2)
	v_cndmask_b32_e64 v3, v17, v3, s2
	s_wait_alu 0xfffd
	v_cndmask_b32_e32 v12, v16, v15, vcc_lo
	v_add_co_u32 v15, vcc_lo, v8, 1
	s_wait_alu 0xfffd
	v_add_co_ci_u32_e32 v16, vcc_lo, 0, v11, vcc_lo
	s_delay_alu instid0(VALU_DEP_3) | instskip(SKIP_1) | instid1(VALU_DEP_2)
	v_cmp_ne_u32_e32 vcc_lo, 0, v12
	s_wait_alu 0xfffd
	v_cndmask_b32_e32 v4, v16, v14, vcc_lo
	v_cndmask_b32_e32 v12, v15, v13, vcc_lo
	v_cmp_ne_u32_e32 vcc_lo, 0, v3
	s_wait_alu 0xfffd
	s_delay_alu instid0(VALU_DEP_3) | instskip(NEXT) | instid1(VALU_DEP_3)
	v_cndmask_b32_e32 v4, v11, v4, vcc_lo
	v_cndmask_b32_e32 v3, v8, v12, vcc_lo
.LBB0_4:                                ;   in Loop: Header=BB0_2 Depth=1
	s_wait_alu 0xfffe
	s_and_not1_saveexec_b32 s2, s26
	s_cbranch_execz .LBB0_6
; %bb.5:                                ;   in Loop: Header=BB0_2 Depth=1
	v_cvt_f32_u32_e32 v3, s24
	s_sub_co_i32 s26, 0, s24
	s_delay_alu instid0(VALU_DEP_1) | instskip(NEXT) | instid1(TRANS32_DEP_1)
	v_rcp_iflag_f32_e32 v3, v3
	v_mul_f32_e32 v3, 0x4f7ffffe, v3
	s_delay_alu instid0(VALU_DEP_1) | instskip(SKIP_1) | instid1(VALU_DEP_1)
	v_cvt_u32_f32_e32 v3, v3
	s_wait_alu 0xfffe
	v_mul_lo_u32 v4, s26, v3
	s_delay_alu instid0(VALU_DEP_1) | instskip(NEXT) | instid1(VALU_DEP_1)
	v_mul_hi_u32 v4, v3, v4
	v_add_nc_u32_e32 v3, v3, v4
	s_delay_alu instid0(VALU_DEP_1) | instskip(NEXT) | instid1(VALU_DEP_1)
	v_mul_hi_u32 v3, v9, v3
	v_mul_lo_u32 v4, v3, s24
	v_add_nc_u32_e32 v8, 1, v3
	s_delay_alu instid0(VALU_DEP_2) | instskip(NEXT) | instid1(VALU_DEP_1)
	v_sub_nc_u32_e32 v4, v9, v4
	v_subrev_nc_u32_e32 v11, s24, v4
	v_cmp_le_u32_e32 vcc_lo, s24, v4
	s_wait_alu 0xfffd
	s_delay_alu instid0(VALU_DEP_2) | instskip(NEXT) | instid1(VALU_DEP_1)
	v_dual_cndmask_b32 v4, v4, v11 :: v_dual_cndmask_b32 v3, v3, v8
	v_cmp_le_u32_e32 vcc_lo, s24, v4
	s_delay_alu instid0(VALU_DEP_2) | instskip(SKIP_2) | instid1(VALU_DEP_2)
	v_add_nc_u32_e32 v8, 1, v3
	v_mov_b32_e32 v4, v7
	s_wait_alu 0xfffd
	v_cndmask_b32_e32 v3, v3, v8, vcc_lo
.LBB0_6:                                ;   in Loop: Header=BB0_2 Depth=1
	s_wait_alu 0xfffe
	s_or_b32 exec_lo, exec_lo, s2
	v_mul_lo_u32 v8, v4, s24
	s_delay_alu instid0(VALU_DEP_2)
	v_mul_lo_u32 v13, v3, s25
	s_load_b64 s[26:27], s[18:19], 0x0
	v_mad_co_u64_u32 v[11:12], null, v3, s24, 0
	s_load_b64 s[24:25], s[16:17], 0x0
	s_add_nc_u64 s[20:21], s[20:21], 1
	s_add_nc_u64 s[16:17], s[16:17], 8
	s_wait_alu 0xfffe
	v_cmp_ge_u64_e64 s2, s[20:21], s[10:11]
	s_add_nc_u64 s[18:19], s[18:19], 8
	s_add_nc_u64 s[22:23], s[22:23], 8
	v_add3_u32 v8, v12, v13, v8
	v_sub_co_u32 v9, vcc_lo, v9, v11
	s_wait_alu 0xfffd
	s_delay_alu instid0(VALU_DEP_2) | instskip(SKIP_2) | instid1(VALU_DEP_1)
	v_sub_co_ci_u32_e32 v8, vcc_lo, v10, v8, vcc_lo
	s_and_b32 vcc_lo, exec_lo, s2
	s_wait_kmcnt 0x0
	v_mul_lo_u32 v10, s26, v8
	v_mul_lo_u32 v11, s27, v9
	v_mad_co_u64_u32 v[5:6], null, s26, v9, v[5:6]
	v_mul_lo_u32 v8, s24, v8
	v_mul_lo_u32 v12, s25, v9
	v_mad_co_u64_u32 v[1:2], null, s24, v9, v[1:2]
	s_delay_alu instid0(VALU_DEP_4) | instskip(NEXT) | instid1(VALU_DEP_2)
	v_add3_u32 v6, v11, v6, v10
	v_add3_u32 v2, v12, v2, v8
	s_wait_alu 0xfffe
	s_cbranch_vccnz .LBB0_9
; %bb.7:                                ;   in Loop: Header=BB0_2 Depth=1
	v_dual_mov_b32 v10, v4 :: v_dual_mov_b32 v9, v3
	s_branch .LBB0_2
.LBB0_8:
	v_dual_mov_b32 v1, v5 :: v_dual_mov_b32 v2, v6
	v_dual_mov_b32 v3, v9 :: v_dual_mov_b32 v4, v10
.LBB0_9:
	s_load_b64 s[0:1], s[0:1], 0x28
	v_mul_hi_u32 v17, 0x1767dcf, v0
	s_lshl_b64 s[10:11], s[10:11], 3
                                        ; implicit-def: $sgpr2_sgpr3
                                        ; implicit-def: $vgpr30
	s_wait_kmcnt 0x0
	v_cmp_gt_u64_e32 vcc_lo, s[0:1], v[3:4]
	v_cmp_le_u64_e64 s0, s[0:1], v[3:4]
	s_delay_alu instid0(VALU_DEP_1)
	s_and_saveexec_b32 s1, s0
	s_wait_alu 0xfffe
	s_xor_b32 s0, exec_lo, s1
; %bb.10:
	v_mul_u32_u24_e32 v5, 0xaf, v17
	s_mov_b64 s[2:3], 0
                                        ; implicit-def: $vgpr17
	s_delay_alu instid0(VALU_DEP_1)
	v_sub_nc_u32_e32 v30, v0, v5
                                        ; implicit-def: $vgpr0
                                        ; implicit-def: $vgpr5_vgpr6
; %bb.11:
	s_wait_alu 0xfffe
	s_or_saveexec_b32 s1, s0
	v_dual_mov_b32 v12, s3 :: v_dual_mov_b32 v11, s2
	v_dual_mov_b32 v14, s3 :: v_dual_mov_b32 v13, s2
	;; [unrolled: 1-line block ×5, first 2 shown]
	s_add_nc_u64 s[2:3], s[14:15], s[10:11]
                                        ; implicit-def: $vgpr26
                                        ; implicit-def: $vgpr24
                                        ; implicit-def: $vgpr18
                                        ; implicit-def: $vgpr20
                                        ; implicit-def: $vgpr22
	s_wait_alu 0xfffe
	s_xor_b32 exec_lo, exec_lo, s1
	s_cbranch_execz .LBB0_13
; %bb.12:
	s_add_nc_u64 s[10:11], s[12:13], s[10:11]
	v_lshlrev_b64_e32 v[5:6], 3, v[5:6]
	s_load_b64 s[10:11], s[10:11], 0x0
	s_wait_kmcnt 0x0
	v_mul_lo_u32 v9, s11, v3
	v_mul_lo_u32 v10, s10, v4
	v_mad_co_u64_u32 v[7:8], null, s10, v3, 0
	s_delay_alu instid0(VALU_DEP_1) | instskip(SKIP_1) | instid1(VALU_DEP_2)
	v_add3_u32 v8, v8, v10, v9
	v_mul_u32_u24_e32 v9, 0xaf, v17
	v_lshlrev_b64_e32 v[7:8], 3, v[7:8]
	s_delay_alu instid0(VALU_DEP_2) | instskip(NEXT) | instid1(VALU_DEP_2)
	v_sub_nc_u32_e32 v30, v0, v9
	v_add_co_u32 v0, s0, s4, v7
	s_wait_alu 0xf1ff
	s_delay_alu instid0(VALU_DEP_3) | instskip(NEXT) | instid1(VALU_DEP_3)
	v_add_co_ci_u32_e64 v7, s0, s5, v8, s0
	v_lshlrev_b32_e32 v8, 3, v30
	s_delay_alu instid0(VALU_DEP_3) | instskip(SKIP_1) | instid1(VALU_DEP_3)
	v_add_co_u32 v0, s0, v0, v5
	s_wait_alu 0xf1ff
	v_add_co_ci_u32_e64 v6, s0, v7, v6, s0
	s_delay_alu instid0(VALU_DEP_2) | instskip(SKIP_1) | instid1(VALU_DEP_2)
	v_add_co_u32 v5, s0, v0, v8
	s_wait_alu 0xf1ff
	v_add_co_ci_u32_e64 v6, s0, 0, v6, s0
	s_clause 0x9
	global_load_b64 v[21:22], v[5:6], off offset:8400
	global_load_b64 v[19:20], v[5:6], off offset:9800
	global_load_b64 v[11:12], v[5:6], off
	global_load_b64 v[13:14], v[5:6], off offset:1400
	global_load_b64 v[15:16], v[5:6], off offset:2800
	;; [unrolled: 1-line block ×7, first 2 shown]
.LBB0_13:
	s_or_b32 exec_lo, exec_lo, s1
	s_wait_loadcnt 0x3
	v_sub_f32_e32 v29, v12, v26
	v_lshlrev_b32_e32 v5, 2, v30
	v_sub_f32_e32 v33, v14, v22
	v_sub_f32_e32 v27, v11, v25
	s_wait_loadcnt 0x0
	v_dual_sub_f32 v21, v13, v21 :: v_dual_sub_f32 v18, v8, v18
	v_fma_f32 v28, v12, 2.0, -v29
	v_sub_f32_e32 v12, v15, v19
	v_lshl_add_u32 v19, v30, 3, 0
	v_sub_f32_e32 v35, v16, v20
	v_add_nc_u32_e32 v31, 0xaf, v30
	v_fma_f32 v20, v13, 2.0, -v21
	s_load_b64 s[2:3], s[2:3], 0x0
	v_sub_nc_u32_e32 v0, v19, v5
	v_sub_f32_e32 v23, v9, v23
	v_fma_f32 v34, v16, 2.0, -v35
	v_sub_f32_e32 v16, v7, v17
	v_fma_f32 v32, v14, 2.0, -v33
	;; [unrolled: 2-line block ×3, first 2 shown]
	v_fma_f32 v11, v15, 2.0, -v12
	v_add_nc_u32_e32 v24, 0xa00, v19
	v_fma_f32 v17, v8, 2.0, -v18
	v_add_nc_u32_e32 v8, 0x500, v0
	v_fma_f32 v22, v9, 2.0, -v23
	v_fma_f32 v13, v10, 2.0, -v14
	v_lshl_add_u32 v25, v31, 3, 0
	v_fma_f32 v15, v7, 2.0, -v16
	v_add_nc_u32_e32 v9, 0xa00, v0
	v_add_nc_u32_e32 v10, 0x1000, v0
	ds_store_b64 v19, v[26:27]
	ds_store_2addr_b64 v24, v[11:12], v[22:23] offset0:30 offset1:205
	ds_store_b64 v25, v[20:21]
	ds_store_b64 v19, v[15:16] offset:5600
	v_add_nc_u32_e32 v11, 0x1500, v0
	global_wb scope:SCOPE_SE
	s_wait_dscnt 0x0
	s_wait_kmcnt 0x0
	s_barrier_signal -1
	s_barrier_wait -1
	global_inv scope:SCOPE_SE
	ds_load_2addr_b32 v[6:7], v0 offset1:175
	ds_load_2addr_b32 v[36:37], v8 offset0:30 offset1:205
	ds_load_2addr_b32 v[38:39], v9 offset0:60 offset1:235
	;; [unrolled: 1-line block ×4, first 2 shown]
	global_wb scope:SCOPE_SE
	s_wait_dscnt 0x0
	s_barrier_signal -1
	s_barrier_wait -1
	global_inv scope:SCOPE_SE
	ds_store_b64 v19, v[28:29]
	v_and_b32_e32 v28, 1, v30
	ds_store_2addr_b64 v24, v[34:35], v[13:14] offset0:30 offset1:205
	ds_store_b64 v25, v[32:33]
	ds_store_b64 v19, v[17:18] offset:5600
	v_and_b32_e32 v35, 1, v31
	global_wb scope:SCOPE_SE
	s_wait_dscnt 0x0
	s_barrier_signal -1
	v_lshlrev_b32_e32 v16, 5, v28
	s_barrier_wait -1
	v_lshlrev_b32_e32 v24, 5, v35
	global_inv scope:SCOPE_SE
	v_lshrrev_b32_e32 v29, 1, v30
	s_clause 0x3
	global_load_b128 v[12:15], v16, s[8:9]
	global_load_b128 v[16:19], v16, s[8:9] offset:16
	global_load_b128 v[20:23], v24, s[8:9]
	global_load_b128 v[24:27], v24, s[8:9] offset:16
	v_and_b32_e32 v32, 0xff, v30
	v_lshrrev_b32_e32 v33, 1, v31
	v_mul_u32_u24_e32 v29, 10, v29
	v_and_b32_e32 v44, 0xffff, v31
	v_cmp_gt_u32_e64 s0, 0x4b, v30
	v_mul_lo_u16 v34, 0xcd, v32
	v_mul_u32_u24_e32 v51, 10, v33
	v_or_b32_e32 v50, v29, v28
	v_mul_u32_u24_e32 v46, 0xcccd, v44
	s_delay_alu instid0(VALU_DEP_4)
	v_lshrrev_b16 v56, 11, v34
	ds_load_2addr_b32 v[28:29], v8 offset0:30 offset1:205
	ds_load_2addr_b32 v[33:34], v9 offset0:60 offset1:235
	;; [unrolled: 1-line block ×3, first 2 shown]
	v_or_b32_e32 v35, v51, v35
	v_lshrrev_b32_e32 v62, 19, v46
	v_lshl_add_u32 v50, v50, 2, 0
	v_mul_lo_u16 v52, v56, 10
	s_delay_alu instid0(VALU_DEP_4) | instskip(NEXT) | instid1(VALU_DEP_4)
	v_lshl_add_u32 v35, v35, 2, 0
	v_mul_lo_u16 v53, v62, 10
	s_delay_alu instid0(VALU_DEP_3)
	v_sub_nc_u16 v52, v30, v52
	s_wait_loadcnt_dscnt 0x200
	v_mul_f32_e32 v54, v44, v17
	s_wait_loadcnt 0x1
	v_mul_f32_e32 v57, v29, v21
	v_sub_nc_u16 v51, v31, v53
	v_mul_f32_e32 v53, v33, v15
	v_mul_f32_e32 v15, v38, v15
	v_dual_mul_f32 v17, v40, v17 :: v_dual_mul_f32 v58, v34, v23
	s_wait_loadcnt 0x0
	v_dual_mul_f32 v59, v45, v25 :: v_dual_and_b32 v64, 0xffff, v51
	v_mul_f32_e32 v51, v28, v13
	v_mul_f32_e32 v13, v36, v13
	v_fmac_f32_e32 v15, v33, v14
	v_mul_f32_e32 v21, v37, v21
	s_delay_alu instid0(VALU_DEP_4) | instskip(NEXT) | instid1(VALU_DEP_4)
	v_fma_f32 v36, v36, v12, -v51
	v_fmac_f32_e32 v13, v28, v12
	v_fma_f32 v12, v38, v14, -v53
	v_fma_f32 v14, v40, v16, -v54
	v_fmac_f32_e32 v17, v44, v16
	s_delay_alu instid0(VALU_DEP_2)
	v_add_f32_e32 v28, v12, v14
	ds_load_2addr_b32 v[46:47], v0 offset1:175
	ds_load_2addr_b32 v[48:49], v11 offset0:56 offset1:231
	global_wb scope:SCOPE_SE
	s_wait_dscnt 0x0
	s_barrier_signal -1
	s_barrier_wait -1
	global_inv scope:SCOPE_SE
	v_mul_f32_e32 v55, v48, v19
	v_mul_f32_e32 v19, v42, v19
	;; [unrolled: 1-line block ×3, first 2 shown]
	s_delay_alu instid0(VALU_DEP_3) | instskip(SKIP_1) | instid1(VALU_DEP_2)
	v_fma_f32 v16, v42, v18, -v55
	v_mul_f32_e32 v23, v39, v23
	v_dual_mul_f32 v25, v41, v25 :: v_dual_add_f32 v38, v36, v16
	s_delay_alu instid0(VALU_DEP_2) | instskip(NEXT) | instid1(VALU_DEP_2)
	v_dual_fmac_f32 v23, v34, v22 :: v_dual_sub_f32 v34, v36, v12
	v_fmac_f32_e32 v25, v45, v24
	v_fmac_f32_e32 v19, v48, v18
	v_fma_f32 v18, v37, v20, -v57
	v_fmac_f32_e32 v21, v29, v20
	v_fma_f32 v20, v39, v22, -v58
	v_dual_add_f32 v66, v23, v25 :: v_dual_and_b32 v63, 0xff, v52
	v_add_f32_e32 v42, v15, v17
	v_fma_f32 v22, v41, v24, -v59
	v_fma_f32 v24, v43, v26, -v60
	v_mul_f32_e32 v27, v43, v27
	v_dual_sub_f32 v43, v12, v14 :: v_dual_lshlrev_b32 v52, 5, v63
	s_delay_alu instid0(VALU_DEP_3) | instskip(NEXT) | instid1(VALU_DEP_3)
	v_dual_sub_f32 v57, v18, v20 :: v_dual_sub_f32 v58, v24, v22
	v_dual_fmac_f32 v27, v49, v26 :: v_dual_add_f32 v26, v6, v36
	v_sub_f32_e32 v39, v12, v36
	v_dual_sub_f32 v60, v20, v18 :: v_dual_sub_f32 v61, v22, v24
	v_sub_f32_e32 v40, v14, v16
	s_delay_alu instid0(VALU_DEP_4)
	v_dual_add_f32 v12, v26, v12 :: v_dual_sub_f32 v37, v16, v14
	v_dual_add_f32 v70, v21, v27 :: v_dual_add_f32 v51, v7, v18
	v_dual_sub_f32 v54, v21, v27 :: v_dual_add_f32 v59, v18, v24
	v_dual_sub_f32 v18, v18, v24 :: v_dual_sub_f32 v29, v13, v19
	v_add_f32_e32 v48, v13, v19
	v_fma_f32 v26, -0.5, v28, v6
	v_add_f32_e32 v28, v34, v37
	v_add_f32_e32 v34, v39, v40
	v_fma_f32 v37, -0.5, v42, v46
	v_add_f32_e32 v42, v60, v61
	v_add_f32_e32 v41, v46, v13
	v_dual_add_f32 v53, v20, v22 :: v_dual_sub_f32 v44, v13, v15
	v_dual_sub_f32 v33, v15, v17 :: v_dual_sub_f32 v68, v21, v23
	v_dual_sub_f32 v45, v19, v17 :: v_dual_add_f32 v12, v12, v14
	v_fma_f32 v6, -0.5, v38, v6
	v_dual_sub_f32 v13, v15, v13 :: v_dual_fmamk_f32 v14, v29, 0x3f737871, v26
	v_dual_sub_f32 v67, v20, v22 :: v_dual_add_f32 v20, v51, v20
	v_add_f32_e32 v15, v41, v15
	v_fma_f32 v41, -0.5, v48, v46
	v_fmac_f32_e32 v26, 0xbf737871, v29
	v_fma_f32 v39, -0.5, v53, v7
	v_add_f32_e32 v65, v47, v21
	v_dual_sub_f32 v49, v17, v19 :: v_dual_add_f32 v38, v44, v45
	v_dual_sub_f32 v55, v23, v25 :: v_dual_add_f32 v20, v20, v22
	v_fmamk_f32 v46, v33, 0xbf737871, v6
	v_fmac_f32_e32 v6, 0x3f737871, v33
	v_fmamk_f32 v48, v43, 0x3f737871, v41
	v_dual_fmac_f32 v7, -0.5, v59 :: v_dual_sub_f32 v36, v36, v16
	v_dual_sub_f32 v69, v27, v25 :: v_dual_add_f32 v12, v12, v16
	v_dual_sub_f32 v21, v23, v21 :: v_dual_fmamk_f32 v22, v54, 0x3f737871, v39
	s_delay_alu instid0(VALU_DEP_3)
	v_fmac_f32_e32 v48, 0xbf167918, v36
	v_dual_fmac_f32 v14, 0x3f167918, v33 :: v_dual_add_f32 v23, v65, v23
	v_dual_add_f32 v13, v13, v49 :: v_dual_add_f32 v16, v20, v24
	v_fma_f32 v44, -0.5, v66, v47
	v_fmac_f32_e32 v6, 0xbf167918, v29
	v_fmamk_f32 v49, v55, 0xbf737871, v7
	v_fmac_f32_e32 v7, 0x3f737871, v55
	v_fmac_f32_e32 v39, 0xbf737871, v54
	v_dual_fmac_f32 v46, 0x3f167918, v29 :: v_dual_sub_f32 v71, v25, v27
	v_fmac_f32_e32 v26, 0xbf167918, v33
	v_dual_add_f32 v40, v57, v58 :: v_dual_add_f32 v45, v68, v69
	v_dual_fmac_f32 v22, 0x3f167918, v55 :: v_dual_add_f32 v15, v15, v17
	s_delay_alu instid0(VALU_DEP_4)
	v_fmac_f32_e32 v46, 0x3e9e377a, v34
	v_dual_fmac_f32 v14, 0x3e9e377a, v28 :: v_dual_add_f32 v23, v23, v25
	v_fmac_f32_e32 v6, 0x3e9e377a, v34
	v_fmamk_f32 v25, v18, 0xbf737871, v44
	v_fmac_f32_e32 v44, 0x3f737871, v18
	v_fmac_f32_e32 v47, -0.5, v70
	v_fmac_f32_e32 v49, 0x3f167918, v54
	v_fmac_f32_e32 v7, 0xbf167918, v54
	v_fmamk_f32 v17, v36, 0xbf737871, v37
	v_fmac_f32_e32 v39, 0xbf167918, v55
	v_fmac_f32_e32 v41, 0xbf737871, v43
	v_dual_add_f32 v21, v21, v71 :: v_dual_fmac_f32 v26, 0x3e9e377a, v28
	v_fmac_f32_e32 v37, 0x3f737871, v36
	v_dual_add_f32 v15, v15, v19 :: v_dual_fmac_f32 v48, 0x3e9e377a, v13
	v_dual_add_f32 v19, v23, v27 :: v_dual_fmac_f32 v22, 0x3e9e377a, v40
	v_fmac_f32_e32 v44, 0x3f167918, v67
	v_fmamk_f32 v51, v67, 0x3f737871, v47
	v_fmac_f32_e32 v47, 0xbf737871, v67
	v_fmac_f32_e32 v49, 0x3e9e377a, v42
	;; [unrolled: 1-line block ×4, first 2 shown]
	ds_store_2addr_b32 v50, v12, v14 offset1:2
	ds_store_2addr_b32 v50, v46, v6 offset0:4 offset1:6
	ds_store_b32 v50, v26 offset:32
	ds_store_2addr_b32 v35, v16, v22 offset1:2
	ds_store_2addr_b32 v35, v49, v7 offset0:4 offset1:6
	ds_store_b32 v35, v39 offset:32
	v_dual_fmac_f32 v17, 0xbf167918, v43 :: v_dual_lshlrev_b32 v14, 5, v64
	v_lshlrev_b32_e32 v22, 2, v64
	v_fmac_f32_e32 v41, 0x3f167918, v36
	v_fmac_f32_e32 v37, 0x3f167918, v43
	;; [unrolled: 1-line block ×5, first 2 shown]
	v_dual_fmac_f32 v17, 0x3e9e377a, v38 :: v_dual_fmac_f32 v44, 0x3e9e377a, v45
	v_fmac_f32_e32 v41, 0x3e9e377a, v13
	v_fmac_f32_e32 v37, 0x3e9e377a, v38
	;; [unrolled: 1-line block ×5, first 2 shown]
	global_wb scope:SCOPE_SE
	s_wait_dscnt 0x0
	s_barrier_signal -1
	s_barrier_wait -1
	global_inv scope:SCOPE_SE
	ds_load_2addr_b32 v[6:7], v0 offset1:175
	ds_load_2addr_b32 v[12:13], v8 offset0:30 offset1:205
	ds_load_2addr_b32 v[20:21], v9 offset0:60 offset1:235
	;; [unrolled: 1-line block ×4, first 2 shown]
	global_wb scope:SCOPE_SE
	s_wait_dscnt 0x0
	s_barrier_signal -1
	s_barrier_wait -1
	global_inv scope:SCOPE_SE
	ds_store_2addr_b32 v50, v15, v17 offset1:2
	ds_store_2addr_b32 v50, v48, v41 offset0:4 offset1:6
	ds_store_b32 v50, v37 offset:32
	ds_store_2addr_b32 v35, v19, v25 offset1:2
	ds_store_2addr_b32 v35, v51, v47 offset0:4 offset1:6
	ds_store_b32 v35, v44 offset:32
	global_wb scope:SCOPE_SE
	s_wait_dscnt 0x0
	s_barrier_signal -1
	s_barrier_wait -1
	global_inv scope:SCOPE_SE
	s_clause 0x3
	global_load_b128 v[16:19], v52, s[8:9] offset:64
	global_load_b128 v[44:47], v52, s[8:9] offset:80
	;; [unrolled: 1-line block ×4, first 2 shown]
	v_and_b32_e32 v14, 0xffff, v56
	ds_load_2addr_b32 v[56:57], v8 offset0:30 offset1:205
	ds_load_2addr_b32 v[58:59], v9 offset0:60 offset1:235
	ds_load_2addr_b32 v[60:61], v10 offset0:26 offset1:201
	ds_load_2addr_b32 v[10:11], v11 offset0:56 offset1:231
	v_mul_u32_u24_e32 v9, 0xc8, v62
	v_add_nc_u32_e32 v24, 0xfa0, v0
	s_wait_loadcnt_dscnt 0x203
	v_dual_mul_f32 v38, v39, v47 :: v_dual_mul_f32 v29, v56, v17
	v_mul_u32_u24_e32 v8, 0xc8, v14
	v_lshlrev_b32_e32 v14, 2, v63
	s_wait_loadcnt 0x0
	v_dual_mul_f32 v27, v21, v51 :: v_dual_mul_f32 v28, v34, v53
	s_wait_dscnt 0x0
	v_fmac_f32_e32 v38, v10, v46
	v_mul_f32_e32 v36, v20, v19
	v_add3_u32 v15, 0, v8, v14
	v_add3_u32 v14, 0, v9, v22
	v_dual_mul_f32 v22, v12, v17 :: v_dual_mul_f32 v17, v58, v19
	v_mul_f32_e32 v19, v60, v45
	v_mul_f32_e32 v37, v33, v45
	s_delay_alu instid0(VALU_DEP_3) | instskip(SKIP_3) | instid1(VALU_DEP_4)
	v_dual_mul_f32 v35, v10, v47 :: v_dual_fmac_f32 v22, v56, v16
	v_fma_f32 v41, v12, v16, -v29
	v_dual_fmac_f32 v27, v59, v50 :: v_dual_fmac_f32 v28, v61, v52
	v_mul_f32_e32 v26, v13, v49
	v_dual_sub_f32 v12, v22, v38 :: v_dual_mul_f32 v45, v57, v49
	v_mul_f32_e32 v49, v61, v53
	v_fma_f32 v43, v33, v44, -v19
	v_fmac_f32_e32 v37, v60, v44
	v_fma_f32 v44, v39, v46, -v35
	v_fma_f32 v39, v13, v48, -v45
	v_sub_f32_e32 v45, v27, v28
	v_mul_f32_e32 v47, v59, v51
	v_mul_f32_e32 v51, v11, v55
	;; [unrolled: 1-line block ×3, first 2 shown]
	v_fma_f32 v42, v20, v18, -v17
	v_fma_f32 v35, v34, v52, -v49
	;; [unrolled: 1-line block ×4, first 2 shown]
	v_fmac_f32_e32 v36, v58, v18
	v_dual_sub_f32 v16, v41, v42 :: v_dual_sub_f32 v17, v44, v43
	v_dual_add_f32 v18, v41, v44 :: v_dual_sub_f32 v19, v42, v41
	v_dual_sub_f32 v20, v43, v44 :: v_dual_sub_f32 v49, v29, v39
	v_sub_f32_e32 v50, v35, v40
	v_fmac_f32_e32 v26, v57, v48
	v_dual_add_f32 v10, v6, v41 :: v_dual_add_f32 v33, v29, v35
	v_add_f32_e32 v16, v16, v17
	v_fma_f32 v17, -0.5, v18, v6
	v_add_f32_e32 v18, v19, v20
	v_add_f32_e32 v20, v49, v50
	v_fmac_f32_e32 v25, v11, v54
	v_dual_add_f32 v48, v39, v40 :: v_dual_add_f32 v51, v10, v42
	v_fma_f32 v10, -0.5, v33, v7
	s_delay_alu instid0(VALU_DEP_3) | instskip(SKIP_1) | instid1(VALU_DEP_4)
	v_dual_add_f32 v21, v7, v39 :: v_dual_sub_f32 v34, v26, v25
	v_dual_sub_f32 v46, v39, v29 :: v_dual_sub_f32 v47, v40, v35
	v_fmac_f32_e32 v7, -0.5, v48
	v_add_f32_e32 v11, v42, v43
	s_delay_alu instid0(VALU_DEP_4) | instskip(SKIP_2) | instid1(VALU_DEP_4)
	v_fmamk_f32 v48, v34, 0x3f737871, v10
	v_add_nc_u32_e32 v23, 0x7c0, v0
	v_dual_add_f32 v19, v46, v47 :: v_dual_fmac_f32 v10, 0xbf737871, v34
	v_fma_f32 v11, -0.5, v11, v6
	v_add_f32_e32 v6, v21, v29
	v_dual_fmac_f32 v48, 0x3f167918, v45 :: v_dual_add_f32 v21, v51, v43
	s_delay_alu instid0(VALU_DEP_4) | instskip(NEXT) | instid1(VALU_DEP_4)
	v_fmac_f32_e32 v10, 0xbf167918, v45
	v_fmamk_f32 v33, v12, 0x3f737871, v11
	v_fmac_f32_e32 v11, 0xbf737871, v12
	s_delay_alu instid0(VALU_DEP_4) | instskip(SKIP_3) | instid1(VALU_DEP_4)
	v_dual_fmac_f32 v48, 0x3e9e377a, v19 :: v_dual_sub_f32 v13, v36, v37
	v_dual_add_f32 v47, v6, v35 :: v_dual_fmamk_f32 v6, v45, 0xbf737871, v7
	v_fmac_f32_e32 v7, 0x3f737871, v45
	v_add_f32_e32 v21, v21, v44
	v_fmamk_f32 v46, v13, 0xbf737871, v17
	v_fmac_f32_e32 v17, 0x3f737871, v13
	v_fmac_f32_e32 v33, 0x3f167918, v13
	;; [unrolled: 1-line block ×8, first 2 shown]
	s_delay_alu instid0(VALU_DEP_4) | instskip(NEXT) | instid1(VALU_DEP_4)
	v_dual_fmac_f32 v11, 0x3e9e377a, v16 :: v_dual_fmac_f32 v46, 0x3e9e377a, v18
	v_dual_fmac_f32 v17, 0x3e9e377a, v18 :: v_dual_add_f32 v12, v47, v40
	v_fmac_f32_e32 v6, 0x3e9e377a, v20
	v_fmac_f32_e32 v7, 0x3e9e377a, v20
	ds_load_2addr_b32 v[8:9], v0 offset1:175
	global_wb scope:SCOPE_SE
	s_wait_dscnt 0x0
	s_barrier_signal -1
	s_barrier_wait -1
	global_inv scope:SCOPE_SE
	v_fmac_f32_e32 v10, 0x3e9e377a, v19
	ds_store_2addr_b32 v15, v21, v33 offset1:10
	ds_store_2addr_b32 v15, v46, v17 offset0:20 offset1:30
	ds_store_b32 v15, v11 offset:160
	ds_store_2addr_b32 v14, v12, v48 offset1:10
	ds_store_2addr_b32 v14, v6, v7 offset0:20 offset1:30
	ds_store_b32 v14, v10 offset:160
	global_wb scope:SCOPE_SE
	s_wait_dscnt 0x0
	s_barrier_signal -1
	s_barrier_wait -1
	global_inv scope:SCOPE_SE
	ds_load_2addr_b32 v[12:13], v0 offset1:250
	ds_load_2addr_b32 v[20:21], v23 offset0:4 offset1:254
	ds_load_2addr_b32 v[18:19], v24 offset1:250
	ds_load_b32 v34, v0 offset:6000
                                        ; implicit-def: $vgpr16
                                        ; implicit-def: $vgpr33
	s_and_saveexec_b32 s1, s0
	s_cbranch_execz .LBB0_15
; %bb.14:
	v_add_nc_u32_e32 v6, 0x2b0, v0
	v_add_nc_u32_e32 v10, 0xa80, v0
	;; [unrolled: 1-line block ×3, first 2 shown]
	ds_load_2addr_b32 v[6:7], v6 offset0:3 offset1:253
	ds_load_2addr_b32 v[10:11], v10 offset0:3 offset1:253
	;; [unrolled: 1-line block ×3, first 2 shown]
	ds_load_b32 v33, v0 offset:6700
.LBB0_15:
	s_wait_alu 0xfffe
	s_or_b32 exec_lo, exec_lo, s1
	v_dual_add_f32 v45, v36, v37 :: v_dual_sub_f32 v42, v42, v43
	v_dual_add_f32 v46, v8, v22 :: v_dual_sub_f32 v41, v41, v44
	global_wb scope:SCOPE_SE
	s_wait_dscnt 0x0
	v_fma_f32 v43, -0.5, v45, v8
	v_sub_f32_e32 v44, v22, v36
	v_sub_f32_e32 v45, v38, v37
	s_barrier_signal -1
	s_barrier_wait -1
	v_fmamk_f32 v48, v41, 0xbf737871, v43
	v_fmac_f32_e32 v43, 0x3f737871, v41
	v_dual_add_f32 v47, v22, v38 :: v_dual_add_f32 v44, v44, v45
	v_add_f32_e32 v46, v46, v36
	global_inv scope:SCOPE_SE
	v_fmac_f32_e32 v43, 0x3f167918, v42
	v_fma_f32 v45, -0.5, v47, v8
	v_add_f32_e32 v8, v46, v37
	v_add_f32_e32 v46, v27, v28
	s_delay_alu instid0(VALU_DEP_4) | instskip(NEXT) | instid1(VALU_DEP_4)
	v_fmac_f32_e32 v43, 0x3e9e377a, v44
	v_fmamk_f32 v47, v42, 0x3f737871, v45
	v_fmac_f32_e32 v45, 0xbf737871, v42
	s_delay_alu instid0(VALU_DEP_2) | instskip(NEXT) | instid1(VALU_DEP_1)
	v_dual_fmac_f32 v48, 0xbf167918, v42 :: v_dual_fmac_f32 v47, 0xbf167918, v41
	v_dual_add_f32 v49, v8, v38 :: v_dual_fmac_f32 v48, 0x3e9e377a, v44
	v_sub_f32_e32 v8, v36, v22
	v_fma_f32 v22, -0.5, v46, v9
	v_sub_f32_e32 v36, v37, v38
	v_dual_sub_f32 v38, v39, v40 :: v_dual_fmac_f32 v45, 0x3f167918, v41
	v_add_f32_e32 v37, v9, v26
	s_delay_alu instid0(VALU_DEP_3) | instskip(SKIP_1) | instid1(VALU_DEP_3)
	v_dual_add_f32 v39, v26, v25 :: v_dual_add_f32 v8, v8, v36
	v_sub_f32_e32 v29, v29, v35
	v_dual_add_f32 v36, v37, v27 :: v_dual_fmamk_f32 v37, v38, 0xbf737871, v22
	s_delay_alu instid0(VALU_DEP_3) | instskip(NEXT) | instid1(VALU_DEP_4)
	v_dual_fmac_f32 v22, 0x3f737871, v38 :: v_dual_fmac_f32 v9, -0.5, v39
	v_fmac_f32_e32 v47, 0x3e9e377a, v8
	v_fmac_f32_e32 v45, 0x3e9e377a, v8
	s_delay_alu instid0(VALU_DEP_3) | instskip(NEXT) | instid1(VALU_DEP_4)
	v_dual_fmac_f32 v22, 0x3f167918, v29 :: v_dual_add_f32 v35, v36, v28
	v_fmamk_f32 v8, v29, 0x3f737871, v9
	v_dual_sub_f32 v36, v26, v27 :: v_dual_sub_f32 v39, v25, v28
	v_dual_sub_f32 v26, v27, v26 :: v_dual_sub_f32 v27, v28, v25
	s_delay_alu instid0(VALU_DEP_3) | instskip(NEXT) | instid1(VALU_DEP_3)
	v_dual_fmac_f32 v8, 0xbf167918, v38 :: v_dual_fmac_f32 v37, 0xbf167918, v29
	v_add_f32_e32 v28, v36, v39
	s_delay_alu instid0(VALU_DEP_1) | instskip(NEXT) | instid1(VALU_DEP_4)
	v_fmac_f32_e32 v22, 0x3e9e377a, v28
	v_dual_fmac_f32 v9, 0xbf737871, v29 :: v_dual_add_f32 v26, v26, v27
	v_add_f32_e32 v25, v35, v25
	v_fmac_f32_e32 v37, 0x3e9e377a, v28
	s_delay_alu instid0(VALU_DEP_3) | instskip(NEXT) | instid1(VALU_DEP_4)
	v_fmac_f32_e32 v9, 0x3f167918, v38
	v_fmac_f32_e32 v8, 0x3e9e377a, v26
	s_delay_alu instid0(VALU_DEP_2)
	v_fmac_f32_e32 v9, 0x3e9e377a, v26
	ds_store_2addr_b32 v15, v49, v48 offset1:10
	ds_store_2addr_b32 v15, v47, v45 offset0:20 offset1:30
	ds_store_b32 v15, v43 offset:160
	ds_store_2addr_b32 v14, v25, v37 offset1:10
	ds_store_2addr_b32 v14, v8, v9 offset0:20 offset1:30
	ds_store_b32 v14, v22 offset:160
	global_wb scope:SCOPE_SE
	s_wait_dscnt 0x0
	s_barrier_signal -1
	s_barrier_wait -1
	global_inv scope:SCOPE_SE
	ds_load_2addr_b32 v[14:15], v0 offset1:250
	ds_load_2addr_b32 v[28:29], v23 offset0:4 offset1:254
	ds_load_2addr_b32 v[26:27], v24 offset1:250
	ds_load_b32 v38, v0 offset:6000
                                        ; implicit-def: $vgpr24
                                        ; implicit-def: $vgpr37
	s_and_saveexec_b32 s1, s0
	s_cbranch_execz .LBB0_17
; %bb.16:
	v_add_nc_u32_e32 v8, 0x2b0, v0
	v_add_nc_u32_e32 v22, 0xa80, v0
	v_add_nc_u32_e32 v24, 0x1250, v0
	ds_load_2addr_b32 v[8:9], v8 offset0:3 offset1:253
	ds_load_2addr_b32 v[22:23], v22 offset0:3 offset1:253
	;; [unrolled: 1-line block ×3, first 2 shown]
	ds_load_b32 v37, v0 offset:6700
.LBB0_17:
	s_wait_alu 0xfffe
	s_or_b32 exec_lo, exec_lo, s1
	v_mul_lo_u16 v32, v32, 41
	v_lshrrev_b16 v36, 1, v31
	s_delay_alu instid0(VALU_DEP_2) | instskip(NEXT) | instid1(VALU_DEP_1)
	v_lshrrev_b16 v32, 11, v32
	v_mul_lo_u16 v35, v32, 50
	s_delay_alu instid0(VALU_DEP_1) | instskip(NEXT) | instid1(VALU_DEP_1)
	v_sub_nc_u16 v35, v30, v35
	v_and_b32_e32 v35, 0xff, v35
	s_delay_alu instid0(VALU_DEP_1) | instskip(NEXT) | instid1(VALU_DEP_1)
	v_mul_u32_u24_e32 v39, 6, v35
	v_lshlrev_b32_e32 v39, 3, v39
	s_clause 0x1
	global_load_b128 v[46:49], v39, s[8:9] offset:384
	global_load_b128 v[50:53], v39, s[8:9] offset:400
	v_and_b32_e32 v36, 0xffff, v36
	v_and_b32_e32 v32, 0xffff, v32
	s_wait_loadcnt 0x1
	v_mul_f32_e32 v40, v13, v47
	s_wait_loadcnt 0x0
	v_mul_f32_e32 v42, v18, v53
	s_wait_dscnt 0x3
	s_delay_alu instid0(VALU_DEP_2)
	v_dual_mul_f32 v41, v20, v49 :: v_dual_fmac_f32 v40, v15, v46
	global_load_b128 v[54:57], v39, s[8:9] offset:416
	s_wait_dscnt 0x2
	v_dual_fmac_f32 v41, v28, v48 :: v_dual_mul_f32 v44, v15, v47
	v_mul_f32_e32 v47, v28, v49
	v_mul_u32_u24_e32 v36, 0x147b, v36
	v_mul_f32_e32 v49, v29, v51
	v_mul_u32_u24_e32 v32, 0x578, v32
	s_wait_dscnt 0x1
	v_fmac_f32_e32 v42, v26, v52
	v_lshrrev_b32_e32 v36, 17, v36
	v_fma_f32 v15, v21, v50, -v49
	s_delay_alu instid0(VALU_DEP_2) | instskip(NEXT) | instid1(VALU_DEP_1)
	v_mul_lo_u16 v36, v36, 50
	v_sub_nc_u16 v36, v31, v36
	s_delay_alu instid0(VALU_DEP_1) | instskip(NEXT) | instid1(VALU_DEP_1)
	v_and_b32_e32 v39, 0xffff, v36
	v_mul_u32_u24_e32 v36, 6, v39
	s_delay_alu instid0(VALU_DEP_1)
	v_lshlrev_b32_e32 v36, 3, v36
	s_clause 0x2
	global_load_b128 v[58:61], v36, s[8:9] offset:384
	global_load_b128 v[62:65], v36, s[8:9] offset:400
	;; [unrolled: 1-line block ×3, first 2 shown]
	v_lshlrev_b32_e32 v36, 2, v35
	v_and_b32_e32 v35, 0xff, v31
	global_wb scope:SCOPE_SE
	s_wait_loadcnt_dscnt 0x0
	s_barrier_signal -1
	s_barrier_wait -1
	v_add3_u32 v36, 0, v32, v36
	global_inv scope:SCOPE_SE
	v_mul_f32_e32 v43, v19, v55
	v_mul_f32_e32 v45, v34, v57
	v_fma_f32 v44, v13, v46, -v44
	v_fma_f32 v13, v20, v48, -v47
	s_delay_alu instid0(VALU_DEP_3)
	v_dual_fmac_f32 v45, v38, v56 :: v_dual_mul_f32 v20, v7, v59
	v_lshlrev_b32_e32 v32, 2, v39
	v_mul_f32_e32 v39, v21, v51
	v_mul_f32_e32 v51, v26, v53
	v_dual_mul_f32 v53, v27, v55 :: v_dual_mul_f32 v48, v24, v65
	v_mul_f32_e32 v55, v38, v57
	v_mul_f32_e32 v38, v22, v61
	s_delay_alu instid0(VALU_DEP_4) | instskip(NEXT) | instid1(VALU_DEP_4)
	v_fma_f32 v18, v18, v52, -v51
	v_fma_f32 v46, v19, v54, -v53
	v_mul_f32_e32 v28, v33, v69
	v_fma_f32 v34, v34, v56, -v55
	v_dual_fmac_f32 v39, v29, v50 :: v_dual_sub_f32 v52, v40, v45
	s_delay_alu instid0(VALU_DEP_4) | instskip(SKIP_1) | instid1(VALU_DEP_3)
	v_add_f32_e32 v53, v13, v46
	v_dual_mul_f32 v47, v23, v63 :: v_dual_fmac_f32 v20, v9, v58
	v_dual_add_f32 v51, v44, v34 :: v_dual_sub_f32 v56, v42, v39
	v_dual_mul_f32 v26, v16, v65 :: v_dual_fmac_f32 v43, v27, v54
	v_mul_f32_e32 v50, v37, v69
	v_mul_f32_e32 v29, v9, v59
	v_add_f32_e32 v55, v15, v18
	v_add_f32_e32 v9, v53, v51
	v_dual_mul_f32 v21, v10, v61 :: v_dual_sub_f32 v54, v41, v43
	v_dual_mul_f32 v19, v11, v63 :: v_dual_fmac_f32 v26, v24, v64
	s_delay_alu instid0(VALU_DEP_3) | instskip(SKIP_3) | instid1(VALU_DEP_4)
	v_add_f32_e32 v9, v55, v9
	v_fma_f32 v29, v7, v58, -v29
	v_fma_f32 v7, v10, v60, -v38
	v_dual_sub_f32 v38, v56, v54 :: v_dual_mul_f32 v27, v17, v67
	v_add_f32_e32 v12, v12, v9
	v_sub_f32_e32 v10, v53, v51
	v_mul_f32_e32 v49, v25, v67
	s_delay_alu instid0(VALU_DEP_4)
	v_dual_fmac_f32 v21, v22, v60 :: v_dual_mul_f32 v38, 0xbf08b237, v38
	v_fma_f32 v22, v11, v62, -v47
	v_fmac_f32_e32 v19, v23, v62
	v_fma_f32 v23, v16, v64, -v48
	v_sub_f32_e32 v16, v55, v53
	v_fma_f32 v24, v17, v66, -v49
	v_dual_sub_f32 v48, v54, v52 :: v_dual_fmamk_f32 v9, v9, 0xbf955555, v12
	v_sub_f32_e32 v47, v52, v56
	v_add_f32_e32 v17, v56, v54
	v_mul_f32_e32 v49, 0x3d64c772, v16
	v_fmac_f32_e32 v28, v37, v68
	v_fmac_f32_e32 v27, v25, v66
	v_fma_f32 v25, v33, v68, -v50
	v_dual_add_f32 v17, v17, v52 :: v_dual_fmamk_f32 v52, v47, 0x3eae86e6, v38
	v_fma_f32 v38, 0x3f5ff5aa, v48, -v38
	v_sub_f32_e32 v11, v51, v55
	v_mul_f32_e32 v51, 0x3f5ff5aa, v48
	v_fma_f32 v49, 0x3f3bfb3b, v10, -v49
	v_fmac_f32_e32 v52, 0x3ee1c552, v17
	v_fmac_f32_e32 v38, 0x3ee1c552, v17
	v_mul_f32_e32 v11, 0x3f4a47b2, v11
	s_delay_alu instid0(VALU_DEP_1) | instskip(SKIP_1) | instid1(VALU_DEP_2)
	v_fma_f32 v10, 0xbf3bfb3b, v10, -v11
	v_fmamk_f32 v16, v16, 0x3d64c772, v11
	v_add_f32_e32 v10, v10, v9
	v_fma_f32 v47, 0xbeae86e6, v47, -v51
	s_delay_alu instid0(VALU_DEP_3) | instskip(SKIP_1) | instid1(VALU_DEP_2)
	v_add_f32_e32 v11, v16, v9
	v_add_f32_e32 v9, v49, v9
	v_dual_fmac_f32 v47, 0x3ee1c552, v17 :: v_dual_add_f32 v16, v52, v11
	s_delay_alu instid0(VALU_DEP_2) | instskip(SKIP_2) | instid1(VALU_DEP_4)
	v_sub_f32_e32 v33, v9, v38
	v_add_f32_e32 v9, v38, v9
	v_sub_f32_e32 v11, v11, v52
	v_dual_add_f32 v17, v47, v10 :: v_dual_sub_f32 v10, v10, v47
	ds_store_2addr_b32 v36, v12, v16 offset1:50
	ds_store_2addr_b32 v36, v17, v33 offset0:100 offset1:150
	ds_store_2addr_b32 v36, v9, v10 offset0:200 offset1:250
	ds_store_b32 v36, v11 offset:1200
	s_and_saveexec_b32 s1, s0
	s_cbranch_execz .LBB0_19
; %bb.18:
	v_dual_add_f32 v9, v29, v25 :: v_dual_add_f32 v10, v7, v24
	v_dual_add_f32 v11, v22, v23 :: v_dual_sub_f32 v12, v20, v28
	v_sub_f32_e32 v16, v26, v19
	v_mul_lo_u16 v37, v35, 41
	s_delay_alu instid0(VALU_DEP_3) | instskip(SKIP_2) | instid1(VALU_DEP_4)
	v_dual_add_f32 v17, v10, v9 :: v_dual_sub_f32 v38, v9, v11
	v_sub_f32_e32 v33, v21, v27
	v_sub_f32_e32 v47, v11, v10
	v_lshrrev_b16 v37, 11, v37
	s_delay_alu instid0(VALU_DEP_4) | instskip(NEXT) | instid1(VALU_DEP_4)
	v_dual_mul_f32 v38, 0x3f4a47b2, v38 :: v_dual_add_f32 v11, v11, v17
	v_dual_sub_f32 v9, v10, v9 :: v_dual_sub_f32 v10, v33, v12
	s_delay_alu instid0(VALU_DEP_2) | instskip(NEXT) | instid1(VALU_DEP_1)
	v_dual_sub_f32 v17, v12, v16 :: v_dual_add_f32 v6, v6, v11
	v_dual_sub_f32 v48, v16, v33 :: v_dual_fmamk_f32 v11, v11, 0xbf955555, v6
	s_delay_alu instid0(VALU_DEP_1) | instskip(SKIP_2) | instid1(VALU_DEP_3)
	v_dual_add_f32 v16, v16, v33 :: v_dual_mul_f32 v33, 0xbf08b237, v48
	v_dual_fmamk_f32 v48, v47, 0x3d64c772, v38 :: v_dual_mul_f32 v47, 0x3d64c772, v47
	v_fma_f32 v38, 0xbf3bfb3b, v9, -v38
	v_add_f32_e32 v12, v16, v12
	v_mul_f32_e32 v16, 0x3f5ff5aa, v10
	s_delay_alu instid0(VALU_DEP_4) | instskip(SKIP_2) | instid1(VALU_DEP_4)
	v_dual_fmamk_f32 v49, v17, 0x3eae86e6, v33 :: v_dual_add_f32 v48, v48, v11
	v_fma_f32 v9, 0x3f3bfb3b, v9, -v47
	v_fma_f32 v10, 0x3f5ff5aa, v10, -v33
	;; [unrolled: 1-line block ×3, first 2 shown]
	v_add_f32_e32 v17, v38, v11
	s_delay_alu instid0(VALU_DEP_3) | instskip(NEXT) | instid1(VALU_DEP_3)
	v_dual_add_f32 v9, v9, v11 :: v_dual_fmac_f32 v10, 0x3ee1c552, v12
	v_fmac_f32_e32 v16, 0x3ee1c552, v12
	v_and_b32_e32 v33, 0xffff, v37
	v_fmac_f32_e32 v49, 0x3ee1c552, v12
	s_delay_alu instid0(VALU_DEP_3) | instskip(SKIP_1) | instid1(VALU_DEP_4)
	v_sub_f32_e32 v12, v17, v16
	v_add_f32_e32 v16, v16, v17
	v_mul_u32_u24_e32 v11, 0x578, v33
	s_delay_alu instid0(VALU_DEP_4)
	v_add_f32_e32 v37, v49, v48
	v_sub_f32_e32 v33, v9, v10
	v_add_f32_e32 v9, v10, v9
	v_sub_f32_e32 v10, v48, v49
	v_add3_u32 v11, 0, v11, v32
	ds_store_2addr_b32 v11, v6, v37 offset1:50
	ds_store_2addr_b32 v11, v16, v33 offset0:100 offset1:150
	ds_store_2addr_b32 v11, v9, v12 offset0:200 offset1:250
	ds_store_b32 v11, v10 offset:1200
.LBB0_19:
	s_wait_alu 0xfffe
	s_or_b32 exec_lo, exec_lo, s1
	v_dual_add_f32 v6, v40, v45 :: v_dual_add_f32 v9, v41, v43
	v_sub_f32_e32 v10, v44, v34
	v_add_f32_e32 v11, v39, v42
	v_dual_sub_f32 v12, v13, v46 :: v_dual_sub_f32 v13, v18, v15
	s_delay_alu instid0(VALU_DEP_4) | instskip(SKIP_1) | instid1(VALU_DEP_4)
	v_add_f32_e32 v15, v9, v6
	v_sub_f32_e32 v16, v9, v6
	v_dual_sub_f32 v6, v6, v11 :: v_dual_sub_f32 v9, v11, v9
	s_delay_alu instid0(VALU_DEP_4) | instskip(NEXT) | instid1(VALU_DEP_4)
	v_add_f32_e32 v17, v13, v12
	v_add_f32_e32 v11, v11, v15
	v_sub_f32_e32 v15, v13, v12
	s_delay_alu instid0(VALU_DEP_4) | instskip(SKIP_1) | instid1(VALU_DEP_4)
	v_dual_sub_f32 v13, v10, v13 :: v_dual_mul_f32 v6, 0x3f4a47b2, v6
	v_sub_f32_e32 v12, v12, v10
	v_dual_add_f32 v34, v14, v11 :: v_dual_add_f32 v33, v17, v10
	s_delay_alu instid0(VALU_DEP_4)
	v_mul_f32_e32 v14, 0xbf08b237, v15
	v_mul_f32_e32 v10, 0x3d64c772, v9
	global_wb scope:SCOPE_SE
	s_wait_dscnt 0x0
	v_fmamk_f32 v11, v11, 0xbf955555, v34
	v_fmamk_f32 v9, v9, 0x3d64c772, v6
	v_fma_f32 v6, 0xbf3bfb3b, v16, -v6
	v_fma_f32 v10, 0x3f3bfb3b, v16, -v10
	;; [unrolled: 1-line block ×3, first 2 shown]
	s_barrier_signal -1
	s_barrier_wait -1
	v_dual_add_f32 v6, v6, v11 :: v_dual_mul_f32 v15, 0x3f5ff5aa, v12
	v_add_f32_e32 v40, v9, v11
	v_dual_add_f32 v41, v10, v11 :: v_dual_fmac_f32 v38, 0x3ee1c552, v33
	v_add_nc_u32_e32 v42, 0x1500, v0
	s_delay_alu instid0(VALU_DEP_4)
	v_fma_f32 v39, 0xbeae86e6, v13, -v15
	global_inv scope:SCOPE_SE
	v_fmac_f32_e32 v39, 0x3ee1c552, v33
	v_fmamk_f32 v37, v13, 0x3eae86e6, v14
	v_add_nc_u32_e32 v14, 0x1000, v0
	v_add_nc_u32_e32 v11, 0x500, v0
	;; [unrolled: 1-line block ×3, first 2 shown]
	v_dual_add_f32 v43, v38, v41 :: v_dual_sub_f32 v38, v41, v38
	ds_load_2addr_b32 v[9:10], v0 offset1:175
	ds_load_2addr_b32 v[11:12], v11 offset0:30 offset1:205
	ds_load_2addr_b32 v[15:16], v13 offset0:60 offset1:235
	;; [unrolled: 1-line block ×4, first 2 shown]
	v_sub_f32_e32 v42, v6, v39
	v_dual_add_f32 v6, v39, v6 :: v_dual_fmac_f32 v37, 0x3ee1c552, v33
	global_wb scope:SCOPE_SE
	s_wait_dscnt 0x0
	s_barrier_signal -1
	s_barrier_wait -1
	global_inv scope:SCOPE_SE
	v_sub_f32_e32 v33, v40, v37
	v_add_f32_e32 v37, v37, v40
	ds_store_2addr_b32 v36, v34, v33 offset1:50
	ds_store_2addr_b32 v36, v42, v43 offset0:100 offset1:150
	ds_store_2addr_b32 v36, v38, v6 offset0:200 offset1:250
	ds_store_b32 v36, v37 offset:1200
	s_and_saveexec_b32 s1, s0
	s_cbranch_execz .LBB0_21
; %bb.20:
	v_add_f32_e32 v6, v20, v28
	v_dual_add_f32 v20, v21, v27 :: v_dual_add_f32 v19, v19, v26
	v_dual_sub_f32 v21, v29, v25 :: v_dual_sub_f32 v22, v23, v22
	s_delay_alu instid0(VALU_DEP_2) | instskip(NEXT) | instid1(VALU_DEP_3)
	v_dual_sub_f32 v7, v7, v24 :: v_dual_sub_f32 v24, v20, v6
	v_dual_add_f32 v23, v20, v6 :: v_dual_sub_f32 v6, v6, v19
	s_delay_alu instid0(VALU_DEP_2) | instskip(SKIP_1) | instid1(VALU_DEP_3)
	v_dual_sub_f32 v20, v19, v20 :: v_dual_add_f32 v25, v22, v7
	v_mul_lo_u16 v27, v35, 41
	v_add_f32_e32 v19, v19, v23
	s_delay_alu instid0(VALU_DEP_4) | instskip(SKIP_1) | instid1(VALU_DEP_3)
	v_dual_sub_f32 v23, v22, v7 :: v_dual_mul_f32 v6, 0x3f4a47b2, v6
	v_dual_sub_f32 v22, v21, v22 :: v_dual_sub_f32 v7, v7, v21
	v_dual_add_f32 v8, v8, v19 :: v_dual_add_f32 v21, v25, v21
	s_delay_alu instid0(VALU_DEP_3) | instskip(SKIP_1) | instid1(VALU_DEP_3)
	v_dual_mul_f32 v25, 0x3d64c772, v20 :: v_dual_fmamk_f32 v20, v20, 0x3d64c772, v6
	v_fma_f32 v6, 0xbf3bfb3b, v24, -v6
	v_fmamk_f32 v19, v19, 0xbf955555, v8
	v_lshrrev_b16 v27, 11, v27
	s_delay_alu instid0(VALU_DEP_4) | instskip(NEXT) | instid1(VALU_DEP_3)
	v_fma_f32 v25, 0x3f3bfb3b, v24, -v25
	v_add_f32_e32 v6, v6, v19
	v_mul_f32_e32 v23, 0xbf08b237, v23
	v_add_f32_e32 v20, v20, v19
	s_delay_alu instid0(VALU_DEP_2) | instskip(NEXT) | instid1(VALU_DEP_1)
	v_fmamk_f32 v24, v22, 0x3eae86e6, v23
	v_fmac_f32_e32 v24, 0x3ee1c552, v21
	v_mul_f32_e32 v26, 0x3f5ff5aa, v7
	v_fma_f32 v7, 0x3f5ff5aa, v7, -v23
	s_delay_alu instid0(VALU_DEP_2) | instskip(NEXT) | instid1(VALU_DEP_2)
	v_fma_f32 v22, 0xbeae86e6, v22, -v26
	v_fmac_f32_e32 v7, 0x3ee1c552, v21
	s_delay_alu instid0(VALU_DEP_2) | instskip(SKIP_2) | instid1(VALU_DEP_2)
	v_dual_fmac_f32 v22, 0x3ee1c552, v21 :: v_dual_sub_f32 v21, v20, v24
	v_dual_add_f32 v20, v24, v20 :: v_dual_add_f32 v23, v25, v19
	v_and_b32_e32 v25, 0xffff, v27
	v_add_f32_e32 v26, v7, v23
	v_sub_f32_e32 v7, v23, v7
	s_delay_alu instid0(VALU_DEP_3) | instskip(SKIP_2) | instid1(VALU_DEP_3)
	v_mul_u32_u24_e32 v19, 0x578, v25
	v_sub_f32_e32 v25, v6, v22
	v_add_f32_e32 v6, v22, v6
	v_add3_u32 v19, 0, v19, v32
	ds_store_2addr_b32 v19, v8, v21 offset1:50
	ds_store_2addr_b32 v19, v25, v26 offset0:100 offset1:150
	ds_store_2addr_b32 v19, v7, v6 offset0:200 offset1:250
	ds_store_b32 v19, v20 offset:1200
.LBB0_21:
	s_wait_alu 0xfffe
	s_or_b32 exec_lo, exec_lo, s1
	global_wb scope:SCOPE_SE
	s_wait_dscnt 0x0
	s_barrier_signal -1
	s_barrier_wait -1
	global_inv scope:SCOPE_SE
	s_and_saveexec_b32 s0, vcc_lo
	s_cbranch_execz .LBB0_23
; %bb.22:
	v_dual_mov_b32 v28, 0 :: v_dual_lshlrev_b32 v27, 2, v31
	v_mul_hi_u32 v43, 0x5d9f7391, v30
	v_mul_lo_u32 v29, s2, v4
	v_add_nc_u32_e32 v37, 0x500, v0
	v_add_nc_u32_e32 v39, 0xa00, v0
	v_lshlrev_b64_e32 v[6:7], 3, v[27:28]
	v_mul_lo_u32 v27, s3, v3
	v_mad_co_u64_u32 v[3:4], null, s2, v3, 0
	v_lshrrev_b32_e32 v47, 7, v43
	v_add_nc_u32_e32 v45, 0xaf, v30
	v_add_co_u32 v23, vcc_lo, s8, v6
	s_wait_alu 0xfffd
	v_add_co_ci_u32_e32 v24, vcc_lo, s9, v7, vcc_lo
	v_mov_b32_e32 v6, v28
	v_mul_hi_u32 v44, 0x5d9f7391, v45
	s_clause 0x1
	global_load_b128 v[19:22], v[23:24], off offset:2784
	global_load_b128 v[23:26], v[23:24], off offset:2800
	v_add3_u32 v4, v4, v29, v27
	v_lshlrev_b64_e32 v[5:6], 3, v[5:6]
	v_mul_u32_u24_e32 v27, 0x15e, v47
	v_add_nc_u32_e32 v46, 0x1000, v0
	v_dual_mov_b32 v48, v28 :: v_dual_add_nc_u32 v41, 0x1500, v0
	v_lshrrev_b32_e32 v49, 7, v44
	v_add_co_u32 v31, vcc_lo, s8, v5
	s_wait_alu 0xfffd
	v_add_co_ci_u32_e32 v32, vcc_lo, s9, v6, vcc_lo
	s_clause 0x1
	global_load_b128 v[5:8], v[31:32], off offset:2784
	global_load_b128 v[31:34], v[31:32], off offset:2800
	v_mul_u32_u24_e32 v29, 0x15e, v49
	v_lshlrev_b64_e32 v[3:4], 3, v[3:4]
	v_sub_nc_u32_e32 v27, v30, v27
	ds_load_2addr_b32 v[35:36], v0 offset1:175
	v_lshlrev_b64_e32 v[0:1], 3, v[1:2]
	v_sub_nc_u32_e32 v29, v45, v29
	v_mov_b32_e32 v2, v28
	v_add_co_u32 v3, vcc_lo, s6, v3
	ds_load_2addr_b32 v[37:38], v37 offset0:30 offset1:205
	ds_load_2addr_b32 v[39:40], v39 offset0:60 offset1:235
	ds_load_2addr_b32 v[41:42], v41 offset0:56 offset1:231
	ds_load_2addr_b32 v[43:44], v46 offset0:26 offset1:201
	s_wait_alu 0xfffd
	v_add_co_ci_u32_e32 v4, vcc_lo, s7, v4, vcc_lo
	v_lshlrev_b32_e32 v30, 3, v27
	v_mad_u32_u24 v27, 0x6d6, v49, v29
	v_add_co_u32 v49, vcc_lo, v3, v0
	s_wait_alu 0xfffd
	v_add_co_ci_u32_e32 v50, vcc_lo, v4, v1, vcc_lo
	s_delay_alu instid0(VALU_DEP_3) | instskip(SKIP_3) | instid1(VALU_DEP_4)
	v_add_nc_u32_e32 v1, 0x15e, v27
	v_lshlrev_b64_e32 v[3:4], 3, v[27:28]
	v_dual_mov_b32 v46, v28 :: v_dual_add_nc_u32 v45, 0x2bc, v27
	v_add_nc_u32_e32 v47, 0x41a, v27
	v_lshlrev_b64_e32 v[0:1], 3, v[1:2]
	v_add_nc_u32_e32 v27, 0x578, v27
	s_delay_alu instid0(VALU_DEP_4) | instskip(NEXT) | instid1(VALU_DEP_4)
	v_lshlrev_b64_e32 v[45:46], 3, v[45:46]
	v_lshlrev_b64_e32 v[47:48], 3, v[47:48]
	s_wait_loadcnt 0x2
	v_mul_f32_e32 v51, v18, v24
	s_wait_dscnt 0x0
	v_mul_f32_e32 v24, v44, v24
	v_add_co_u32 v29, vcc_lo, v49, v30
	s_wait_alu 0xfffd
	v_add_co_ci_u32_e32 v30, vcc_lo, 0, v50, vcc_lo
	v_add_co_u32 v2, vcc_lo, v49, v3
	s_wait_alu 0xfffd
	v_add_co_ci_u32_e32 v3, vcc_lo, v50, v4, vcc_lo
	;; [unrolled: 3-line block ×3, first 2 shown]
	v_lshlrev_b64_e32 v[27:28], 3, v[27:28]
	v_add_co_u32 v45, vcc_lo, v49, v45
	s_wait_alu 0xfffd
	v_add_co_ci_u32_e32 v46, vcc_lo, v50, v46, vcc_lo
	v_add_co_u32 v47, vcc_lo, v49, v47
	s_wait_alu 0xfffd
	v_add_co_ci_u32_e32 v48, vcc_lo, v50, v48, vcc_lo
	;; [unrolled: 3-line block ×3, first 2 shown]
	v_mul_f32_e32 v4, v12, v20
	v_mul_f32_e32 v49, v16, v22
	;; [unrolled: 1-line block ×5, first 2 shown]
	v_dual_mul_f32 v26, v42, v26 :: v_dual_fmac_f32 v51, v44, v23
	v_dual_fmac_f32 v4, v38, v19 :: v_dual_fmac_f32 v49, v40, v21
	v_fmac_f32_e32 v50, v42, v25
	v_fma_f32 v16, v16, v21, -v22
	s_wait_loadcnt 0x0
	v_mul_f32_e32 v21, v43, v32
	v_fma_f32 v18, v18, v23, -v24
	v_fma_f32 v12, v12, v19, -v20
	v_fma_f32 v19, v14, v25, -v26
	v_dual_mul_f32 v20, v15, v8 :: v_dual_sub_f32 v53, v49, v51
	s_delay_alu instid0(VALU_DEP_3) | instskip(SKIP_3) | instid1(VALU_DEP_3)
	v_dual_mul_f32 v22, v13, v34 :: v_dual_sub_f32 v57, v16, v12
	v_dual_mul_f32 v23, v17, v32 :: v_dual_mul_f32 v14, v11, v6
	v_dual_sub_f32 v25, v4, v49 :: v_dual_mul_f32 v6, v37, v6
	v_dual_sub_f32 v26, v50, v51 :: v_dual_sub_f32 v55, v51, v50
	v_fmac_f32_e32 v14, v37, v5
	v_fmac_f32_e32 v22, v41, v33
	;; [unrolled: 1-line block ×3, first 2 shown]
	v_add_f32_e32 v38, v49, v51
	v_fmac_f32_e32 v23, v43, v31
	v_dual_mul_f32 v8, v39, v8 :: v_dual_add_f32 v59, v12, v19
	v_sub_f32_e32 v54, v49, v4
	v_fma_f32 v31, v17, v31, -v21
	s_delay_alu instid0(VALU_DEP_4)
	v_dual_add_f32 v39, v20, v23 :: v_dual_mul_f32 v24, v41, v34
	v_dual_sub_f32 v34, v12, v19 :: v_dual_add_f32 v25, v25, v26
	v_fma_f32 v11, v11, v5, -v6
	v_sub_f32_e32 v17, v14, v20
	v_fma_f32 v5, -0.5, v38, v36
	v_add_f32_e32 v56, v4, v50
	v_dual_add_f32 v60, v4, v36 :: v_dual_sub_f32 v43, v14, v22
	v_sub_f32_e32 v32, v16, v18
	v_fma_f32 v8, v15, v7, -v8
	s_delay_alu instid0(VALU_DEP_4) | instskip(NEXT) | instid1(VALU_DEP_4)
	v_fma_f32 v7, -0.5, v56, v36
	v_dual_add_f32 v15, v49, v60 :: v_dual_sub_f32 v42, v19, v18
	v_fma_f32 v24, v13, v33, -v24
	s_delay_alu instid0(VALU_DEP_4)
	v_sub_f32_e32 v37, v8, v31
	v_add_f32_e32 v33, v54, v55
	v_fmamk_f32 v13, v32, 0xbf737871, v7
	v_fmac_f32_e32 v7, 0x3f737871, v32
	v_dual_sub_f32 v40, v12, v16 :: v_dual_sub_f32 v21, v22, v23
	v_dual_add_f32 v12, v10, v12 :: v_dual_sub_f32 v41, v24, v31
	v_add_f32_e32 v55, v14, v22
	v_dual_sub_f32 v58, v18, v19 :: v_dual_sub_f32 v49, v20, v14
	v_add_f32_e32 v44, v16, v18
	v_sub_f32_e32 v52, v4, v50
	v_dual_add_f32 v26, v40, v42 :: v_dual_add_f32 v51, v51, v15
	v_fma_f32 v6, -0.5, v59, v10
	v_add_f32_e32 v16, v12, v16
	v_dual_sub_f32 v38, v11, v24 :: v_dual_add_f32 v61, v17, v21
	v_dual_sub_f32 v56, v8, v11 :: v_dual_fmac_f32 v7, 0xbf167918, v34
	v_sub_f32_e32 v40, v11, v8
	v_dual_add_f32 v36, v57, v58 :: v_dual_sub_f32 v57, v31, v24
	v_dual_add_f32 v58, v11, v24 :: v_dual_add_f32 v59, v14, v35
	v_dual_add_f32 v60, v9, v11 :: v_dual_fmamk_f32 v11, v34, 0x3f737871, v5
	v_dual_add_f32 v42, v8, v31 :: v_dual_fmac_f32 v5, 0xbf737871, v34
	v_fma_f32 v4, -0.5, v44, v10
	v_sub_f32_e32 v54, v23, v22
	v_fma_f32 v15, -0.5, v39, v35
	v_fma_f32 v17, -0.5, v55, v35
	v_add_f32_e32 v35, v56, v57
	v_add_f32_e32 v39, v40, v41
	v_add_f32_e32 v41, v20, v59
	v_dual_add_f32 v18, v16, v18 :: v_dual_fmac_f32 v11, 0x3f167918, v32
	v_fma_f32 v14, -0.5, v42, v9
	v_dual_sub_f32 v44, v20, v23 :: v_dual_fmac_f32 v13, 0x3f167918, v34
	v_fma_f32 v16, -0.5, v58, v9
	v_fmac_f32_e32 v5, 0xbf167918, v32
	v_dual_add_f32 v42, v60, v8 :: v_dual_fmac_f32 v11, 0x3e9e377a, v25
	v_fmamk_f32 v10, v52, 0xbf737871, v4
	v_dual_fmamk_f32 v12, v53, 0x3f737871, v6 :: v_dual_add_f32 v23, v23, v41
	v_dual_add_f32 v8, v19, v18 :: v_dual_fmac_f32 v13, 0x3e9e377a, v33
	v_fmamk_f32 v19, v38, 0x3f737871, v15
	v_dual_fmamk_f32 v18, v43, 0xbf737871, v14 :: v_dual_fmac_f32 v15, 0xbf737871, v38
	v_fmac_f32_e32 v14, 0x3f737871, v43
	v_dual_fmac_f32 v4, 0x3f737871, v52 :: v_dual_fmamk_f32 v21, v37, 0x3f737871, v17
	v_fmamk_f32 v20, v44, 0xbf737871, v16
	v_dual_add_f32 v40, v49, v54 :: v_dual_fmac_f32 v17, 0xbf737871, v37
	v_fmac_f32_e32 v16, 0x3f737871, v44
	v_dual_fmac_f32 v6, 0xbf737871, v53 :: v_dual_add_f32 v31, v42, v31
	v_dual_fmac_f32 v12, 0xbf167918, v52 :: v_dual_fmac_f32 v15, 0xbf167918, v37
	v_fmac_f32_e32 v14, 0x3f167918, v44
	v_dual_fmac_f32 v10, 0xbf167918, v53 :: v_dual_fmac_f32 v21, 0xbf167918, v38
	v_dual_fmac_f32 v4, 0x3f167918, v53 :: v_dual_add_f32 v23, v22, v23
	v_dual_fmac_f32 v20, 0x3f167918, v43 :: v_dual_fmac_f32 v17, 0x3f167918, v38
	v_fmac_f32_e32 v16, 0xbf167918, v43
	v_dual_fmac_f32 v6, 0x3f167918, v52 :: v_dual_fmac_f32 v19, 0x3f167918, v37
	v_fmac_f32_e32 v18, 0xbf167918, v44
	v_dual_add_f32 v22, v24, v31 :: v_dual_fmac_f32 v15, 0x3e9e377a, v61
	v_fmac_f32_e32 v14, 0x3e9e377a, v39
	v_dual_fmac_f32 v4, 0x3e9e377a, v26 :: v_dual_fmac_f32 v21, 0x3e9e377a, v40
	v_dual_fmac_f32 v20, 0x3e9e377a, v35 :: v_dual_fmac_f32 v17, 0x3e9e377a, v40
	v_fmac_f32_e32 v16, 0x3e9e377a, v35
	v_dual_fmac_f32 v6, 0x3e9e377a, v36 :: v_dual_fmac_f32 v19, 0x3e9e377a, v61
	v_fmac_f32_e32 v18, 0x3e9e377a, v39
	v_dual_add_f32 v9, v50, v51 :: v_dual_fmac_f32 v10, 0x3e9e377a, v26
	v_dual_fmac_f32 v7, 0x3e9e377a, v33 :: v_dual_fmac_f32 v12, 0x3e9e377a, v36
	v_fmac_f32_e32 v5, 0x3e9e377a, v25
	s_clause 0x9
	global_store_b64 v[29:30], v[22:23], off
	global_store_b64 v[29:30], v[14:15], off offset:2800
	global_store_b64 v[29:30], v[20:21], off offset:5600
	;; [unrolled: 1-line block ×4, first 2 shown]
	global_store_b64 v[2:3], v[8:9], off
	global_store_b64 v[0:1], v[4:5], off
	;; [unrolled: 1-line block ×5, first 2 shown]
.LBB0_23:
	s_nop 0
	s_sendmsg sendmsg(MSG_DEALLOC_VGPRS)
	s_endpgm
	.section	.rodata,"a",@progbits
	.p2align	6, 0x0
	.amdhsa_kernel fft_rtc_fwd_len1750_factors_2_5_5_7_5_wgs_175_tpt_175_halfLds_sp_op_CI_CI_unitstride_sbrr_dirReg
		.amdhsa_group_segment_fixed_size 0
		.amdhsa_private_segment_fixed_size 0
		.amdhsa_kernarg_size 104
		.amdhsa_user_sgpr_count 2
		.amdhsa_user_sgpr_dispatch_ptr 0
		.amdhsa_user_sgpr_queue_ptr 0
		.amdhsa_user_sgpr_kernarg_segment_ptr 1
		.amdhsa_user_sgpr_dispatch_id 0
		.amdhsa_user_sgpr_private_segment_size 0
		.amdhsa_wavefront_size32 1
		.amdhsa_uses_dynamic_stack 0
		.amdhsa_enable_private_segment 0
		.amdhsa_system_sgpr_workgroup_id_x 1
		.amdhsa_system_sgpr_workgroup_id_y 0
		.amdhsa_system_sgpr_workgroup_id_z 0
		.amdhsa_system_sgpr_workgroup_info 0
		.amdhsa_system_vgpr_workitem_id 0
		.amdhsa_next_free_vgpr 72
		.amdhsa_next_free_sgpr 39
		.amdhsa_reserve_vcc 1
		.amdhsa_float_round_mode_32 0
		.amdhsa_float_round_mode_16_64 0
		.amdhsa_float_denorm_mode_32 3
		.amdhsa_float_denorm_mode_16_64 3
		.amdhsa_fp16_overflow 0
		.amdhsa_workgroup_processor_mode 1
		.amdhsa_memory_ordered 1
		.amdhsa_forward_progress 0
		.amdhsa_round_robin_scheduling 0
		.amdhsa_exception_fp_ieee_invalid_op 0
		.amdhsa_exception_fp_denorm_src 0
		.amdhsa_exception_fp_ieee_div_zero 0
		.amdhsa_exception_fp_ieee_overflow 0
		.amdhsa_exception_fp_ieee_underflow 0
		.amdhsa_exception_fp_ieee_inexact 0
		.amdhsa_exception_int_div_zero 0
	.end_amdhsa_kernel
	.text
.Lfunc_end0:
	.size	fft_rtc_fwd_len1750_factors_2_5_5_7_5_wgs_175_tpt_175_halfLds_sp_op_CI_CI_unitstride_sbrr_dirReg, .Lfunc_end0-fft_rtc_fwd_len1750_factors_2_5_5_7_5_wgs_175_tpt_175_halfLds_sp_op_CI_CI_unitstride_sbrr_dirReg
                                        ; -- End function
	.section	.AMDGPU.csdata,"",@progbits
; Kernel info:
; codeLenInByte = 8460
; NumSgprs: 41
; NumVgprs: 72
; ScratchSize: 0
; MemoryBound: 0
; FloatMode: 240
; IeeeMode: 1
; LDSByteSize: 0 bytes/workgroup (compile time only)
; SGPRBlocks: 5
; VGPRBlocks: 8
; NumSGPRsForWavesPerEU: 41
; NumVGPRsForWavesPerEU: 72
; Occupancy: 15
; WaveLimiterHint : 1
; COMPUTE_PGM_RSRC2:SCRATCH_EN: 0
; COMPUTE_PGM_RSRC2:USER_SGPR: 2
; COMPUTE_PGM_RSRC2:TRAP_HANDLER: 0
; COMPUTE_PGM_RSRC2:TGID_X_EN: 1
; COMPUTE_PGM_RSRC2:TGID_Y_EN: 0
; COMPUTE_PGM_RSRC2:TGID_Z_EN: 0
; COMPUTE_PGM_RSRC2:TIDIG_COMP_CNT: 0
	.text
	.p2alignl 7, 3214868480
	.fill 96, 4, 3214868480
	.type	__hip_cuid_59d921d02934b0c3,@object ; @__hip_cuid_59d921d02934b0c3
	.section	.bss,"aw",@nobits
	.globl	__hip_cuid_59d921d02934b0c3
__hip_cuid_59d921d02934b0c3:
	.byte	0                               ; 0x0
	.size	__hip_cuid_59d921d02934b0c3, 1

	.ident	"AMD clang version 19.0.0git (https://github.com/RadeonOpenCompute/llvm-project roc-6.4.0 25133 c7fe45cf4b819c5991fe208aaa96edf142730f1d)"
	.section	".note.GNU-stack","",@progbits
	.addrsig
	.addrsig_sym __hip_cuid_59d921d02934b0c3
	.amdgpu_metadata
---
amdhsa.kernels:
  - .args:
      - .actual_access:  read_only
        .address_space:  global
        .offset:         0
        .size:           8
        .value_kind:     global_buffer
      - .offset:         8
        .size:           8
        .value_kind:     by_value
      - .actual_access:  read_only
        .address_space:  global
        .offset:         16
        .size:           8
        .value_kind:     global_buffer
      - .actual_access:  read_only
        .address_space:  global
        .offset:         24
        .size:           8
        .value_kind:     global_buffer
      - .actual_access:  read_only
        .address_space:  global
        .offset:         32
        .size:           8
        .value_kind:     global_buffer
      - .offset:         40
        .size:           8
        .value_kind:     by_value
      - .actual_access:  read_only
        .address_space:  global
        .offset:         48
        .size:           8
        .value_kind:     global_buffer
      - .actual_access:  read_only
        .address_space:  global
        .offset:         56
        .size:           8
        .value_kind:     global_buffer
      - .offset:         64
        .size:           4
        .value_kind:     by_value
      - .actual_access:  read_only
        .address_space:  global
        .offset:         72
        .size:           8
        .value_kind:     global_buffer
      - .actual_access:  read_only
        .address_space:  global
        .offset:         80
        .size:           8
        .value_kind:     global_buffer
      - .actual_access:  read_only
        .address_space:  global
        .offset:         88
        .size:           8
        .value_kind:     global_buffer
      - .actual_access:  write_only
        .address_space:  global
        .offset:         96
        .size:           8
        .value_kind:     global_buffer
    .group_segment_fixed_size: 0
    .kernarg_segment_align: 8
    .kernarg_segment_size: 104
    .language:       OpenCL C
    .language_version:
      - 2
      - 0
    .max_flat_workgroup_size: 175
    .name:           fft_rtc_fwd_len1750_factors_2_5_5_7_5_wgs_175_tpt_175_halfLds_sp_op_CI_CI_unitstride_sbrr_dirReg
    .private_segment_fixed_size: 0
    .sgpr_count:     41
    .sgpr_spill_count: 0
    .symbol:         fft_rtc_fwd_len1750_factors_2_5_5_7_5_wgs_175_tpt_175_halfLds_sp_op_CI_CI_unitstride_sbrr_dirReg.kd
    .uniform_work_group_size: 1
    .uses_dynamic_stack: false
    .vgpr_count:     72
    .vgpr_spill_count: 0
    .wavefront_size: 32
    .workgroup_processor_mode: 1
amdhsa.target:   amdgcn-amd-amdhsa--gfx1201
amdhsa.version:
  - 1
  - 2
...

	.end_amdgpu_metadata
